;; amdgpu-corpus repo=ROCm/rocFFT kind=compiled arch=gfx1030 opt=O3
	.text
	.amdgcn_target "amdgcn-amd-amdhsa--gfx1030"
	.amdhsa_code_object_version 6
	.protected	fft_rtc_fwd_len1715_factors_5_7_7_7_wgs_245_tpt_245_halfLds_half_op_CI_CI_unitstride_sbrr_dirReg ; -- Begin function fft_rtc_fwd_len1715_factors_5_7_7_7_wgs_245_tpt_245_halfLds_half_op_CI_CI_unitstride_sbrr_dirReg
	.globl	fft_rtc_fwd_len1715_factors_5_7_7_7_wgs_245_tpt_245_halfLds_half_op_CI_CI_unitstride_sbrr_dirReg
	.p2align	8
	.type	fft_rtc_fwd_len1715_factors_5_7_7_7_wgs_245_tpt_245_halfLds_half_op_CI_CI_unitstride_sbrr_dirReg,@function
fft_rtc_fwd_len1715_factors_5_7_7_7_wgs_245_tpt_245_halfLds_half_op_CI_CI_unitstride_sbrr_dirReg: ; @fft_rtc_fwd_len1715_factors_5_7_7_7_wgs_245_tpt_245_halfLds_half_op_CI_CI_unitstride_sbrr_dirReg
; %bb.0:
	s_clause 0x2
	s_load_dwordx4 s[12:15], s[4:5], 0x0
	s_load_dwordx4 s[8:11], s[4:5], 0x58
	;; [unrolled: 1-line block ×3, first 2 shown]
	v_mul_u32_u24_e32 v1, 0x10c, v0
	v_mov_b32_e32 v8, 0
	v_mov_b32_e32 v6, 0
	;; [unrolled: 1-line block ×3, first 2 shown]
	v_add_nc_u32_sdwa v10, s6, v1 dst_sel:DWORD dst_unused:UNUSED_PAD src0_sel:DWORD src1_sel:WORD_1
	v_mov_b32_e32 v11, v8
	s_waitcnt lgkmcnt(0)
	v_cmp_lt_u64_e64 s0, s[14:15], 2
	s_and_b32 vcc_lo, exec_lo, s0
	s_cbranch_vccnz .LBB0_8
; %bb.1:
	s_load_dwordx2 s[0:1], s[4:5], 0x10
	v_mov_b32_e32 v6, 0
	v_mov_b32_e32 v7, 0
	s_add_u32 s2, s18, 8
	s_addc_u32 s3, s19, 0
	v_mov_b32_e32 v1, v6
	s_add_u32 s6, s16, 8
	v_mov_b32_e32 v2, v7
	s_addc_u32 s7, s17, 0
	s_mov_b64 s[22:23], 1
	s_waitcnt lgkmcnt(0)
	s_add_u32 s20, s0, 8
	s_addc_u32 s21, s1, 0
.LBB0_2:                                ; =>This Inner Loop Header: Depth=1
	s_load_dwordx2 s[24:25], s[20:21], 0x0
                                        ; implicit-def: $vgpr3_vgpr4
	s_mov_b32 s0, exec_lo
	s_waitcnt lgkmcnt(0)
	v_or_b32_e32 v9, s25, v11
	v_cmpx_ne_u64_e32 0, v[8:9]
	s_xor_b32 s1, exec_lo, s0
	s_cbranch_execz .LBB0_4
; %bb.3:                                ;   in Loop: Header=BB0_2 Depth=1
	v_cvt_f32_u32_e32 v3, s24
	v_cvt_f32_u32_e32 v4, s25
	s_sub_u32 s0, 0, s24
	s_subb_u32 s26, 0, s25
	v_fmac_f32_e32 v3, 0x4f800000, v4
	v_rcp_f32_e32 v3, v3
	v_mul_f32_e32 v3, 0x5f7ffffc, v3
	v_mul_f32_e32 v4, 0x2f800000, v3
	v_trunc_f32_e32 v4, v4
	v_fmac_f32_e32 v3, 0xcf800000, v4
	v_cvt_u32_f32_e32 v4, v4
	v_cvt_u32_f32_e32 v3, v3
	v_mul_lo_u32 v5, s0, v4
	v_mul_hi_u32 v9, s0, v3
	v_mul_lo_u32 v12, s26, v3
	v_add_nc_u32_e32 v5, v9, v5
	v_mul_lo_u32 v9, s0, v3
	v_add_nc_u32_e32 v5, v5, v12
	v_mul_hi_u32 v12, v3, v9
	v_mul_lo_u32 v13, v3, v5
	v_mul_hi_u32 v14, v3, v5
	v_mul_hi_u32 v15, v4, v9
	v_mul_lo_u32 v9, v4, v9
	v_mul_hi_u32 v16, v4, v5
	v_mul_lo_u32 v5, v4, v5
	v_add_co_u32 v12, vcc_lo, v12, v13
	v_add_co_ci_u32_e32 v13, vcc_lo, 0, v14, vcc_lo
	v_add_co_u32 v9, vcc_lo, v12, v9
	v_add_co_ci_u32_e32 v9, vcc_lo, v13, v15, vcc_lo
	v_add_co_ci_u32_e32 v12, vcc_lo, 0, v16, vcc_lo
	v_add_co_u32 v5, vcc_lo, v9, v5
	v_add_co_ci_u32_e32 v9, vcc_lo, 0, v12, vcc_lo
	v_add_co_u32 v3, vcc_lo, v3, v5
	v_add_co_ci_u32_e32 v4, vcc_lo, v4, v9, vcc_lo
	v_mul_hi_u32 v5, s0, v3
	v_mul_lo_u32 v12, s26, v3
	v_mul_lo_u32 v9, s0, v4
	v_add_nc_u32_e32 v5, v5, v9
	v_mul_lo_u32 v9, s0, v3
	v_add_nc_u32_e32 v5, v5, v12
	v_mul_hi_u32 v12, v3, v9
	v_mul_lo_u32 v13, v3, v5
	v_mul_hi_u32 v14, v3, v5
	v_mul_hi_u32 v15, v4, v9
	v_mul_lo_u32 v9, v4, v9
	v_mul_hi_u32 v16, v4, v5
	v_mul_lo_u32 v5, v4, v5
	v_add_co_u32 v12, vcc_lo, v12, v13
	v_add_co_ci_u32_e32 v13, vcc_lo, 0, v14, vcc_lo
	v_add_co_u32 v9, vcc_lo, v12, v9
	v_add_co_ci_u32_e32 v9, vcc_lo, v13, v15, vcc_lo
	v_add_co_ci_u32_e32 v12, vcc_lo, 0, v16, vcc_lo
	v_add_co_u32 v5, vcc_lo, v9, v5
	v_add_co_ci_u32_e32 v9, vcc_lo, 0, v12, vcc_lo
	v_add_co_u32 v5, vcc_lo, v3, v5
	v_add_co_ci_u32_e32 v9, vcc_lo, v4, v9, vcc_lo
	v_mul_hi_u32 v16, v10, v5
	v_mad_u64_u32 v[12:13], null, v11, v5, 0
	v_mad_u64_u32 v[3:4], null, v10, v9, 0
	;; [unrolled: 1-line block ×3, first 2 shown]
	v_add_co_u32 v3, vcc_lo, v16, v3
	v_add_co_ci_u32_e32 v4, vcc_lo, 0, v4, vcc_lo
	v_add_co_u32 v3, vcc_lo, v3, v12
	v_add_co_ci_u32_e32 v3, vcc_lo, v4, v13, vcc_lo
	v_add_co_ci_u32_e32 v4, vcc_lo, 0, v15, vcc_lo
	v_add_co_u32 v5, vcc_lo, v3, v14
	v_add_co_ci_u32_e32 v9, vcc_lo, 0, v4, vcc_lo
	v_mul_lo_u32 v12, s25, v5
	v_mad_u64_u32 v[3:4], null, s24, v5, 0
	v_mul_lo_u32 v13, s24, v9
	v_sub_co_u32 v3, vcc_lo, v10, v3
	v_add3_u32 v4, v4, v13, v12
	v_sub_nc_u32_e32 v12, v11, v4
	v_subrev_co_ci_u32_e64 v12, s0, s25, v12, vcc_lo
	v_add_co_u32 v13, s0, v5, 2
	v_add_co_ci_u32_e64 v14, s0, 0, v9, s0
	v_sub_co_u32 v15, s0, v3, s24
	v_sub_co_ci_u32_e32 v4, vcc_lo, v11, v4, vcc_lo
	v_subrev_co_ci_u32_e64 v12, s0, 0, v12, s0
	v_cmp_le_u32_e32 vcc_lo, s24, v15
	v_cmp_eq_u32_e64 s0, s25, v4
	v_cndmask_b32_e64 v15, 0, -1, vcc_lo
	v_cmp_le_u32_e32 vcc_lo, s25, v12
	v_cndmask_b32_e64 v16, 0, -1, vcc_lo
	v_cmp_le_u32_e32 vcc_lo, s24, v3
	;; [unrolled: 2-line block ×3, first 2 shown]
	v_cndmask_b32_e64 v17, 0, -1, vcc_lo
	v_cmp_eq_u32_e32 vcc_lo, s25, v12
	v_cndmask_b32_e64 v3, v17, v3, s0
	v_cndmask_b32_e32 v12, v16, v15, vcc_lo
	v_add_co_u32 v15, vcc_lo, v5, 1
	v_add_co_ci_u32_e32 v16, vcc_lo, 0, v9, vcc_lo
	v_cmp_ne_u32_e32 vcc_lo, 0, v12
	v_cndmask_b32_e32 v4, v16, v14, vcc_lo
	v_cndmask_b32_e32 v12, v15, v13, vcc_lo
	v_cmp_ne_u32_e32 vcc_lo, 0, v3
	v_cndmask_b32_e32 v4, v9, v4, vcc_lo
	v_cndmask_b32_e32 v3, v5, v12, vcc_lo
.LBB0_4:                                ;   in Loop: Header=BB0_2 Depth=1
	s_andn2_saveexec_b32 s0, s1
	s_cbranch_execz .LBB0_6
; %bb.5:                                ;   in Loop: Header=BB0_2 Depth=1
	v_cvt_f32_u32_e32 v3, s24
	s_sub_i32 s1, 0, s24
	v_rcp_iflag_f32_e32 v3, v3
	v_mul_f32_e32 v3, 0x4f7ffffe, v3
	v_cvt_u32_f32_e32 v3, v3
	v_mul_lo_u32 v4, s1, v3
	v_mul_hi_u32 v4, v3, v4
	v_add_nc_u32_e32 v3, v3, v4
	v_mul_hi_u32 v3, v10, v3
	v_mul_lo_u32 v4, v3, s24
	v_add_nc_u32_e32 v5, 1, v3
	v_sub_nc_u32_e32 v4, v10, v4
	v_subrev_nc_u32_e32 v9, s24, v4
	v_cmp_le_u32_e32 vcc_lo, s24, v4
	v_cndmask_b32_e32 v4, v4, v9, vcc_lo
	v_cndmask_b32_e32 v3, v3, v5, vcc_lo
	v_cmp_le_u32_e32 vcc_lo, s24, v4
	v_add_nc_u32_e32 v5, 1, v3
	v_mov_b32_e32 v4, v8
	v_cndmask_b32_e32 v3, v3, v5, vcc_lo
.LBB0_6:                                ;   in Loop: Header=BB0_2 Depth=1
	s_or_b32 exec_lo, exec_lo, s0
	v_mul_lo_u32 v5, v4, s24
	v_mul_lo_u32 v9, v3, s25
	s_load_dwordx2 s[0:1], s[6:7], 0x0
	v_mad_u64_u32 v[12:13], null, v3, s24, 0
	s_load_dwordx2 s[24:25], s[2:3], 0x0
	s_add_u32 s22, s22, 1
	s_addc_u32 s23, s23, 0
	s_add_u32 s2, s2, 8
	s_addc_u32 s3, s3, 0
	s_add_u32 s6, s6, 8
	v_add3_u32 v5, v13, v9, v5
	v_sub_co_u32 v9, vcc_lo, v10, v12
	s_addc_u32 s7, s7, 0
	s_add_u32 s20, s20, 8
	v_sub_co_ci_u32_e32 v5, vcc_lo, v11, v5, vcc_lo
	s_addc_u32 s21, s21, 0
	s_waitcnt lgkmcnt(0)
	v_mul_lo_u32 v10, s0, v5
	v_mul_lo_u32 v11, s1, v9
	v_mad_u64_u32 v[6:7], null, s0, v9, v[6:7]
	v_mul_lo_u32 v5, s24, v5
	v_mul_lo_u32 v12, s25, v9
	v_mad_u64_u32 v[1:2], null, s24, v9, v[1:2]
	v_cmp_ge_u64_e64 s0, s[22:23], s[14:15]
	v_add3_u32 v7, v11, v7, v10
	v_add3_u32 v2, v12, v2, v5
	s_and_b32 vcc_lo, exec_lo, s0
	s_cbranch_vccnz .LBB0_9
; %bb.7:                                ;   in Loop: Header=BB0_2 Depth=1
	v_mov_b32_e32 v11, v4
	v_mov_b32_e32 v10, v3
	s_branch .LBB0_2
.LBB0_8:
	v_mov_b32_e32 v1, v6
	v_mov_b32_e32 v3, v10
	;; [unrolled: 1-line block ×4, first 2 shown]
.LBB0_9:
	s_load_dwordx2 s[0:1], s[4:5], 0x28
	v_mul_hi_u32 v29, 0x10b7e6f, v0
	s_lshl_b64 s[4:5], s[14:15], 3
                                        ; implicit-def: $sgpr6
                                        ; implicit-def: $vgpr11
	s_add_u32 s2, s18, s4
	s_addc_u32 s3, s19, s5
	s_waitcnt lgkmcnt(0)
	v_cmp_gt_u64_e32 vcc_lo, s[0:1], v[3:4]
	v_cmp_le_u64_e64 s0, s[0:1], v[3:4]
	s_and_saveexec_b32 s1, s0
	s_xor_b32 s0, exec_lo, s1
; %bb.10:
	v_mul_u32_u24_e32 v5, 0xf5, v29
	s_mov_b32 s6, 0
                                        ; implicit-def: $vgpr29
                                        ; implicit-def: $vgpr6_vgpr7
	v_sub_nc_u32_e32 v11, v0, v5
                                        ; implicit-def: $vgpr0
; %bb.11:
	s_or_saveexec_b32 s1, s0
	s_load_dwordx2 s[2:3], s[2:3], 0x0
	v_mov_b32_e32 v5, s6
                                        ; implicit-def: $vgpr24
                                        ; implicit-def: $vgpr28
                                        ; implicit-def: $vgpr8
                                        ; implicit-def: $vgpr21
                                        ; implicit-def: $vgpr9
                                        ; implicit-def: $vgpr22
                                        ; implicit-def: $vgpr26
                                        ; implicit-def: $vgpr23
                                        ; implicit-def: $vgpr13
                                        ; implicit-def: $vgpr20
                                        ; implicit-def: $vgpr14
                                        ; implicit-def: $vgpr19
                                        ; implicit-def: $vgpr16
                                        ; implicit-def: $vgpr17
                                        ; implicit-def: $vgpr15
                                        ; implicit-def: $vgpr18
                                        ; implicit-def: $vgpr12
                                        ; implicit-def: $vgpr27
                                        ; implicit-def: $vgpr10
                                        ; implicit-def: $vgpr25
	s_xor_b32 exec_lo, exec_lo, s1
	s_cbranch_execz .LBB0_15
; %bb.12:
	s_add_u32 s4, s16, s4
	s_addc_u32 s5, s17, s5
                                        ; implicit-def: $vgpr27
                                        ; implicit-def: $vgpr12
                                        ; implicit-def: $vgpr18
                                        ; implicit-def: $vgpr15
                                        ; implicit-def: $vgpr17
                                        ; implicit-def: $vgpr16
                                        ; implicit-def: $vgpr19
                                        ; implicit-def: $vgpr14
                                        ; implicit-def: $vgpr20
                                        ; implicit-def: $vgpr13
	s_load_dwordx2 s[4:5], s[4:5], 0x0
	s_waitcnt lgkmcnt(0)
	v_mul_lo_u32 v5, s5, v3
	v_mul_lo_u32 v10, s4, v4
	v_mad_u64_u32 v[8:9], null, s4, v3, 0
	s_mov_b32 s4, exec_lo
	v_add3_u32 v9, v9, v10, v5
	v_mul_u32_u24_e32 v10, 0xf5, v29
	v_lshlrev_b64 v[5:6], 2, v[6:7]
	v_lshlrev_b64 v[8:9], 2, v[8:9]
	v_sub_nc_u32_e32 v11, v0, v10
	v_add_co_u32 v0, s0, s8, v8
	v_add_co_ci_u32_e64 v7, s0, s9, v9, s0
	v_lshlrev_b32_e32 v8, 2, v11
	v_add_co_u32 v0, s0, v0, v5
	v_add_co_ci_u32_e64 v6, s0, v7, v6, s0
	v_add_co_u32 v5, s0, v0, v8
	v_add_co_ci_u32_e64 v6, s0, 0, v6, s0
	;; [unrolled: 2-line block ×4, first 2 shown]
	s_clause 0x4
	global_load_dword v28, v[5:6], off
	global_load_dword v21, v[5:6], off offset:1372
	global_load_dword v22, v[7:8], off offset:696
	global_load_dword v25, v[9:10], off offset:20
	global_load_dword v23, v[9:10], off offset:1392
	v_cmpx_gt_u32_e32 0x62, v11
	s_cbranch_execz .LBB0_14
; %bb.13:
	v_add_co_u32 v12, s0, 0x1800, v5
	v_add_co_ci_u32_e64 v13, s0, 0, v6, s0
	s_clause 0x4
	global_load_dword v27, v[5:6], off offset:980
	global_load_dword v18, v[7:8], off offset:304
	;; [unrolled: 1-line block ×5, first 2 shown]
	s_waitcnt vmcnt(4)
	v_lshrrev_b32_e32 v12, 16, v27
	s_waitcnt vmcnt(3)
	v_lshrrev_b32_e32 v15, 16, v18
	;; [unrolled: 2-line block ×5, first 2 shown]
.LBB0_14:
	s_or_b32 exec_lo, exec_lo, s4
	s_waitcnt vmcnt(4)
	v_lshrrev_b32_e32 v24, 16, v28
	s_waitcnt vmcnt(3)
	v_lshrrev_b32_e32 v8, 16, v21
	s_waitcnt vmcnt(2)
	v_lshrrev_b32_e32 v9, 16, v22
	s_waitcnt vmcnt(1)
	v_lshrrev_b32_e32 v10, 16, v25
	s_waitcnt vmcnt(0)
	v_lshrrev_b32_e32 v26, 16, v23
	v_mov_b32_e32 v5, v11
.LBB0_15:
	s_or_b32 exec_lo, exec_lo, s1
	v_add_f16_e32 v6, v25, v22
	v_add_f16_e32 v7, v21, v23
	;; [unrolled: 1-line block ×3, first 2 shown]
	v_sub_f16_e32 v29, v8, v26
	v_sub_f16_e32 v30, v9, v10
	v_fma_f16 v31, -0.5, v6, v28
	v_fmac_f16_e32 v28, -0.5, v7
	v_add_f16_e32 v0, v0, v22
	v_sub_f16_e32 v6, v21, v22
	v_sub_f16_e32 v33, v22, v21
	v_fmamk_f16 v32, v29, 0x3b9c, v31
	v_fmamk_f16 v7, v30, 0xbb9c, v28
	v_sub_f16_e32 v34, v25, v23
	v_fmac_f16_e32 v28, 0x3b9c, v30
	v_sub_f16_e32 v35, v23, v25
	v_add_f16_e32 v0, v0, v25
	v_fmac_f16_e32 v32, 0x38b4, v30
	v_fmac_f16_e32 v7, 0x38b4, v29
	v_add_f16_e32 v33, v33, v34
	v_fmac_f16_e32 v28, 0xb8b4, v29
	v_add_f16_e32 v34, v6, v35
	;; [unrolled: 2-line block ×3, first 2 shown]
	v_fmac_f16_e32 v7, 0x34f2, v33
	v_fmac_f16_e32 v28, 0x34f2, v33
	;; [unrolled: 1-line block ×4, first 2 shown]
	v_mad_u32_u24 v0, v11, 10, 0
	v_cmp_gt_u32_e64 s0, 0x62, v11
	v_pack_b32_f16 v7, v7, v28
	v_pack_b32_f16 v6, v6, v32
	v_fmac_f16_e32 v31, 0x34f2, v34
	ds_write_b64 v0, v[6:7]
	ds_write_b16 v0, v31 offset:8
	s_and_saveexec_b32 s1, s0
	s_cbranch_execz .LBB0_17
; %bb.16:
	v_add_f16_e32 v6, v20, v18
	v_sub_f16_e32 v7, v17, v18
	v_sub_f16_e32 v28, v19, v20
	v_add_f16_e32 v30, v19, v17
	v_sub_f16_e32 v29, v16, v14
	v_fma_f16 v6, -0.5, v6, v27
	v_sub_f16_e32 v31, v15, v13
	v_add_f16_e32 v7, v28, v7
	v_fma_f16 v28, -0.5, v30, v27
	v_add_f16_e32 v27, v18, v27
	v_fmamk_f16 v30, v29, 0x3b9c, v6
	v_fmac_f16_e32 v6, 0xbb9c, v29
	v_sub_f16_e32 v32, v18, v17
	v_sub_f16_e32 v33, v20, v19
	v_fmamk_f16 v34, v31, 0xbb9c, v28
	v_fmac_f16_e32 v28, 0x3b9c, v31
	v_add_f16_e32 v27, v17, v27
	v_fmac_f16_e32 v30, 0xb8b4, v31
	v_fmac_f16_e32 v6, 0x38b4, v31
	v_add_f16_e32 v31, v33, v32
	v_fmac_f16_e32 v28, 0x38b4, v29
	v_add_f16_e32 v27, v19, v27
	v_fmac_f16_e32 v30, 0x34f2, v7
	v_fmac_f16_e32 v6, 0x34f2, v7
	;; [unrolled: 1-line block ×4, first 2 shown]
	v_add_f16_e32 v27, v20, v27
	v_pack_b32_f16 v7, v6, v30
	v_fmac_f16_e32 v34, 0x34f2, v31
	v_pack_b32_f16 v6, v27, v28
	ds_write_b64 v0, v[6:7] offset:2450
	ds_write_b16 v0, v34 offset:2458
.LBB0_17:
	s_or_b32 exec_lo, exec_lo, s1
	v_add_f16_e32 v6, v10, v9
	v_add_f16_e32 v27, v24, v8
	v_lshlrev_b32_e32 v32, 3, v11
	v_add_f16_e32 v7, v8, v26
	v_sub_f16_e32 v35, v10, v26
	v_fma_f16 v28, -0.5, v6, v24
	v_add_f16_e32 v6, v27, v9
	v_sub_f16_e32 v27, v26, v10
	v_sub_f16_e32 v23, v21, v23
	;; [unrolled: 1-line block ×3, first 2 shown]
	v_fmac_f16_e32 v24, -0.5, v7
	v_add_f16_e32 v33, v6, v10
	v_sub_nc_u32_e32 v10, v0, v32
	v_sub_f16_e32 v29, v8, v9
	v_sub_f16_e32 v34, v9, v8
	s_waitcnt lgkmcnt(0)
	s_barrier
	buffer_gl0_inv
	ds_read_u16 v6, v10
	ds_read_u16 v22, v10 offset:490
	ds_read_u16 v21, v10 offset:980
	;; [unrolled: 1-line block ×6, first 2 shown]
	v_fmamk_f16 v30, v23, 0xbb9c, v28
	v_fmamk_f16 v31, v25, 0x3b9c, v24
	v_fmac_f16_e32 v24, 0xbb9c, v25
	v_fmac_f16_e32 v28, 0x3b9c, v23
	v_add_f16_e32 v34, v34, v35
	v_fmac_f16_e32 v30, 0xb8b4, v25
	v_fmac_f16_e32 v31, 0xb8b4, v23
	;; [unrolled: 1-line block ×3, first 2 shown]
	v_add_f16_e32 v23, v29, v27
	v_add_f16_e32 v26, v33, v26
	v_fmac_f16_e32 v28, 0x38b4, v25
	v_fmac_f16_e32 v31, 0x34f2, v34
	;; [unrolled: 1-line block ×4, first 2 shown]
	s_waitcnt lgkmcnt(0)
	v_fmac_f16_e32 v28, 0x34f2, v23
	v_sub_nc_u32_e32 v23, 0, v32
	v_pack_b32_f16 v25, v31, v24
	v_pack_b32_f16 v24, v26, v30
	s_barrier
	buffer_gl0_inv
	ds_write_b64 v0, v[24:25]
	ds_write_b16 v0, v28 offset:8
	s_and_saveexec_b32 s1, s0
	s_cbranch_execz .LBB0_19
; %bb.18:
	v_add_f16_e32 v24, v15, v12
	v_add_f16_e32 v25, v14, v16
	;; [unrolled: 1-line block ×3, first 2 shown]
	v_sub_f16_e32 v18, v18, v20
	v_sub_f16_e32 v17, v17, v19
	v_add_f16_e32 v19, v16, v24
	v_fma_f16 v20, -0.5, v25, v12
	v_fmac_f16_e32 v12, -0.5, v26
	v_sub_f16_e32 v24, v15, v16
	v_sub_f16_e32 v15, v16, v15
	v_add_f16_e32 v19, v14, v19
	v_fmamk_f16 v25, v18, 0xbb9c, v20
	v_fmamk_f16 v26, v17, 0x3b9c, v12
	v_sub_f16_e32 v16, v14, v13
	v_fmac_f16_e32 v12, 0xbb9c, v17
	v_sub_f16_e32 v14, v13, v14
	v_fmac_f16_e32 v25, 0xb8b4, v17
	v_fmac_f16_e32 v26, 0xb8b4, v18
	v_add_f16_e32 v15, v16, v15
	v_fmac_f16_e32 v12, 0x38b4, v18
	v_add_f16_e32 v14, v14, v24
	;; [unrolled: 2-line block ×3, first 2 shown]
	v_mul_f16_e32 v13, 0x34f2, v15
	v_pack_b32_f16 v12, v26, v12
	v_fmac_f16_e32 v25, 0x34f2, v14
	v_fmac_f16_e32 v20, 0x38b4, v17
	v_pk_add_f16 v13, v13, v12 op_sel_hi:[0,1]
	v_pack_b32_f16 v12, v16, v25
	v_fmac_f16_e32 v20, 0x34f2, v14
	ds_write_b64 v0, v[12:13] offset:2450
	ds_write_b16 v0, v20 offset:2458
.LBB0_19:
	s_or_b32 exec_lo, exec_lo, s1
	v_and_b32_e32 v18, 0xff, v11
	v_mov_b32_e32 v20, 6
	s_waitcnt lgkmcnt(0)
	s_barrier
	buffer_gl0_inv
	v_mul_lo_u16 v12, 0xcd, v18
	v_add_nc_u32_e32 v0, v0, v23
	v_mov_b32_e32 v26, 0x46
	v_mov_b32_e32 v28, 1
	v_mul_lo_u16 v18, 0xeb, v18
	v_lshrrev_b16 v19, 10, v12
	v_lshrrev_b16 v18, 13, v18
	v_mul_lo_u16 v12, v19, 5
	v_mul_u32_u24_sdwa v19, v19, v26 dst_sel:DWORD dst_unused:UNUSED_PAD src0_sel:WORD_0 src1_sel:DWORD
	v_mul_lo_u16 v23, v18, 35
	v_sub_nc_u16 v24, v11, v12
	v_sub_nc_u16 v23, v11, v23
	v_mul_u32_u24_sdwa v12, v24, v20 dst_sel:DWORD dst_unused:UNUSED_PAD src0_sel:BYTE_0 src1_sel:DWORD
	v_lshlrev_b32_sdwa v24, v28, v24 dst_sel:DWORD dst_unused:UNUSED_PAD src0_sel:DWORD src1_sel:BYTE_0
	v_mul_u32_u24_sdwa v20, v23, v20 dst_sel:DWORD dst_unused:UNUSED_PAD src0_sel:BYTE_0 src1_sel:DWORD
	v_lshlrev_b32_e32 v16, 2, v12
	v_add3_u32 v19, 0, v19, v24
	v_lshlrev_b32_sdwa v23, v28, v23 dst_sel:DWORD dst_unused:UNUSED_PAD src0_sel:DWORD src1_sel:BYTE_0
	s_clause 0x1
	global_load_dwordx4 v[12:15], v16, s[12:13]
	global_load_dwordx2 v[16:17], v16, s[12:13] offset:16
	ds_read_u16 v25, v0 offset:490
	ds_read_u16 v27, v0 offset:980
	ds_read_u16 v29, v0 offset:1470
	ds_read_u16 v30, v0 offset:1960
	ds_read_u16 v31, v0 offset:2450
	ds_read_u16 v32, v0 offset:2940
	ds_read_u16 v26, v0
	s_waitcnt vmcnt(0) lgkmcnt(0)
	s_barrier
	buffer_gl0_inv
	v_lshlrev_b32_e32 v20, 2, v20
	v_mul_f16_sdwa v24, v25, v12 dst_sel:DWORD dst_unused:UNUSED_PAD src0_sel:DWORD src1_sel:WORD_1
	v_mul_f16_sdwa v33, v22, v12 dst_sel:DWORD dst_unused:UNUSED_PAD src0_sel:DWORD src1_sel:WORD_1
	;; [unrolled: 1-line block ×12, first 2 shown]
	v_fma_f16 v22, v22, v12, -v24
	v_fmac_f16_e32 v33, v25, v12
	v_fma_f16 v12, v21, v13, -v34
	v_fma_f16 v10, v10, v17, -v42
	;; [unrolled: 1-line block ×3, first 2 shown]
	v_fmac_f16_e32 v35, v27, v13
	v_fmac_f16_e32 v43, v32, v17
	;; [unrolled: 1-line block ×3, first 2 shown]
	v_fma_f16 v9, v9, v14, -v36
	v_fmac_f16_e32 v37, v29, v14
	v_fma_f16 v8, v8, v15, -v38
	v_fmac_f16_e32 v39, v30, v15
	v_add_f16_e32 v13, v22, v10
	v_add_f16_e32 v16, v12, v7
	;; [unrolled: 1-line block ×4, first 2 shown]
	v_sub_f16_e32 v10, v22, v10
	v_sub_f16_e32 v7, v12, v7
	;; [unrolled: 1-line block ×3, first 2 shown]
	v_add_f16_e32 v21, v9, v8
	v_add_f16_e32 v22, v37, v39
	v_sub_f16_e32 v8, v8, v9
	v_sub_f16_e32 v9, v39, v37
	v_add_f16_e32 v24, v16, v13
	v_sub_f16_e32 v15, v33, v43
	v_add_f16_e32 v25, v17, v14
	v_sub_f16_e32 v27, v16, v13
	v_sub_f16_e32 v29, v17, v14
	v_sub_f16_e32 v13, v13, v21
	v_sub_f16_e32 v14, v14, v22
	v_sub_f16_e32 v16, v21, v16
	v_sub_f16_e32 v17, v22, v17
	v_add_f16_e32 v31, v9, v12
	v_sub_f16_e32 v33, v9, v12
	v_add_f16_e32 v21, v21, v24
	v_add_f16_e32 v30, v8, v7
	v_sub_f16_e32 v32, v8, v7
	v_sub_f16_e32 v7, v7, v10
	;; [unrolled: 1-line block ×3, first 2 shown]
	v_add_f16_e32 v22, v22, v25
	v_sub_f16_e32 v9, v15, v9
	v_add_f16_e32 v15, v31, v15
	v_mul_f16_e32 v13, 0x3a52, v13
	v_mul_f16_e32 v14, 0x3a52, v14
	;; [unrolled: 1-line block ×4, first 2 shown]
	v_add_f16_e32 v6, v6, v21
	v_sub_f16_e32 v8, v10, v8
	v_add_f16_e32 v10, v30, v10
	v_mul_f16_e32 v24, 0x2b26, v16
	v_mul_f16_e32 v30, 0xb846, v32
	;; [unrolled: 1-line block ×4, first 2 shown]
	v_add_f16_e32 v26, v26, v22
	v_fmamk_f16 v16, v16, 0x2b26, v13
	v_fmamk_f16 v17, v17, 0x2b26, v14
	v_fma_f16 v25, v29, 0x39e0, -v25
	v_fma_f16 v14, v29, 0xb9e0, -v14
	v_fmamk_f16 v29, v9, 0x3574, v31
	v_fmamk_f16 v21, v21, 0xbcab, v6
	v_fma_f16 v24, v27, 0x39e0, -v24
	v_fma_f16 v13, v27, 0xb9e0, -v13
	v_fmamk_f16 v27, v8, 0x3574, v30
	v_fma_f16 v7, v7, 0x3b00, -v30
	v_fma_f16 v8, v8, 0xb574, -v32
	;; [unrolled: 1-line block ×3, first 2 shown]
	v_fmamk_f16 v22, v22, 0xbcab, v26
	v_fma_f16 v12, v12, 0x3b00, -v31
	v_fmac_f16_e32 v29, 0x370e, v15
	ds_write_b16 v19, v6
	v_add_f16_e32 v6, v16, v21
	v_fmac_f16_e32 v27, 0x370e, v10
	v_fmac_f16_e32 v7, 0x370e, v10
	;; [unrolled: 1-line block ×4, first 2 shown]
	v_add_f16_e32 v10, v17, v22
	v_add_f16_e32 v13, v13, v21
	v_fmac_f16_e32 v12, 0x370e, v15
	v_add_f16_e32 v15, v24, v21
	v_add_f16_e32 v14, v14, v22
	;; [unrolled: 1-line block ×4, first 2 shown]
	v_sub_f16_e32 v21, v10, v27
	v_add_f16_e32 v22, v9, v13
	v_sub_f16_e32 v24, v14, v8
	v_sub_f16_e32 v25, v15, v12
	v_add_f16_e32 v30, v7, v16
	v_add_f16_e32 v12, v12, v15
	v_sub_f16_e32 v7, v16, v7
	v_sub_f16_e32 v9, v13, v9
	v_add_f16_e32 v8, v8, v14
	v_sub_f16_e32 v6, v6, v29
	v_add_f16_e32 v10, v27, v10
	ds_write_b16 v19, v17 offset:10
	ds_write_b16 v19, v22 offset:20
	;; [unrolled: 1-line block ×6, first 2 shown]
	s_waitcnt lgkmcnt(0)
	s_barrier
	buffer_gl0_inv
	ds_read_u16 v14, v0
	ds_read_u16 v15, v0 offset:490
	ds_read_u16 v16, v0 offset:980
	;; [unrolled: 1-line block ×6, first 2 shown]
	s_waitcnt lgkmcnt(0)
	s_barrier
	buffer_gl0_inv
	ds_write_b16 v19, v26
	ds_write_b16 v19, v21 offset:10
	ds_write_b16 v19, v24 offset:20
	;; [unrolled: 1-line block ×6, first 2 shown]
	s_waitcnt lgkmcnt(0)
	s_barrier
	buffer_gl0_inv
	s_clause 0x1
	global_load_dwordx4 v[6:9], v20, s[12:13] offset:120
	global_load_dwordx2 v[12:13], v20, s[12:13] offset:136
	v_mov_b32_e32 v20, 0x1ea
	ds_read_u16 v10, v0 offset:490
	ds_read_u16 v19, v0 offset:980
	;; [unrolled: 1-line block ×5, first 2 shown]
	ds_read_u16 v28, v0
	v_mul_u32_u24_sdwa v18, v18, v20 dst_sel:DWORD dst_unused:UNUSED_PAD src0_sel:WORD_0 src1_sel:DWORD
	ds_read_u16 v20, v0 offset:2940
	s_waitcnt vmcnt(0) lgkmcnt(0)
	s_barrier
	buffer_gl0_inv
	v_add3_u32 v18, 0, v18, v23
	v_mul_f16_sdwa v23, v10, v6 dst_sel:DWORD dst_unused:UNUSED_PAD src0_sel:DWORD src1_sel:WORD_1
	v_mul_f16_sdwa v29, v15, v6 dst_sel:DWORD dst_unused:UNUSED_PAD src0_sel:DWORD src1_sel:WORD_1
	v_mul_f16_sdwa v30, v19, v7 dst_sel:DWORD dst_unused:UNUSED_PAD src0_sel:DWORD src1_sel:WORD_1
	v_mul_f16_sdwa v31, v16, v7 dst_sel:DWORD dst_unused:UNUSED_PAD src0_sel:DWORD src1_sel:WORD_1
	v_mul_f16_sdwa v32, v21, v8 dst_sel:DWORD dst_unused:UNUSED_PAD src0_sel:DWORD src1_sel:WORD_1
	v_mul_f16_sdwa v33, v17, v8 dst_sel:DWORD dst_unused:UNUSED_PAD src0_sel:DWORD src1_sel:WORD_1
	v_mul_f16_sdwa v34, v24, v9 dst_sel:DWORD dst_unused:UNUSED_PAD src0_sel:DWORD src1_sel:WORD_1
	v_mul_f16_sdwa v35, v22, v9 dst_sel:DWORD dst_unused:UNUSED_PAD src0_sel:DWORD src1_sel:WORD_1
	v_mul_f16_sdwa v36, v26, v12 dst_sel:DWORD dst_unused:UNUSED_PAD src0_sel:DWORD src1_sel:WORD_1
	v_mul_f16_sdwa v38, v20, v13 dst_sel:DWORD dst_unused:UNUSED_PAD src0_sel:DWORD src1_sel:WORD_1
	v_mul_f16_sdwa v37, v25, v12 dst_sel:DWORD dst_unused:UNUSED_PAD src0_sel:DWORD src1_sel:WORD_1
	v_mul_f16_sdwa v39, v27, v13 dst_sel:DWORD dst_unused:UNUSED_PAD src0_sel:DWORD src1_sel:WORD_1
	v_fma_f16 v15, v15, v6, -v23
	v_fmac_f16_e32 v29, v10, v6
	v_fma_f16 v6, v16, v7, -v30
	v_fmac_f16_e32 v31, v19, v7
	;; [unrolled: 2-line block ×3, first 2 shown]
	v_fma_f16 v8, v22, v9, -v34
	v_fma_f16 v10, v27, v13, -v38
	v_fmac_f16_e32 v35, v24, v9
	v_fma_f16 v9, v25, v12, -v36
	v_fmac_f16_e32 v39, v20, v13
	v_fmac_f16_e32 v37, v26, v12
	v_add_f16_e32 v12, v15, v10
	v_sub_f16_e32 v10, v15, v10
	v_add_f16_e32 v16, v6, v9
	v_add_f16_e32 v13, v29, v39
	v_sub_f16_e32 v15, v29, v39
	v_add_f16_e32 v17, v31, v37
	v_sub_f16_e32 v6, v6, v9
	v_sub_f16_e32 v9, v31, v37
	v_add_f16_e32 v19, v7, v8
	v_add_f16_e32 v20, v33, v35
	v_sub_f16_e32 v7, v8, v7
	v_sub_f16_e32 v8, v35, v33
	v_add_f16_e32 v21, v16, v12
	v_add_f16_e32 v22, v17, v13
	v_sub_f16_e32 v23, v16, v12
	v_sub_f16_e32 v24, v17, v13
	;; [unrolled: 1-line block ×6, first 2 shown]
	v_add_f16_e32 v25, v7, v6
	v_add_f16_e32 v26, v8, v9
	v_sub_f16_e32 v27, v7, v6
	v_sub_f16_e32 v29, v8, v9
	;; [unrolled: 1-line block ×4, first 2 shown]
	v_add_f16_e32 v19, v19, v21
	v_sub_f16_e32 v7, v10, v7
	v_sub_f16_e32 v8, v15, v8
	v_add_f16_e32 v20, v20, v22
	v_add_f16_e32 v10, v25, v10
	v_add_f16_e32 v15, v26, v15
	v_mul_f16_e32 v12, 0x3a52, v12
	v_mul_f16_e32 v13, 0x3a52, v13
	;; [unrolled: 1-line block ×8, first 2 shown]
	v_add_f16_e32 v14, v14, v19
	v_add_f16_e32 v28, v28, v20
	v_fmamk_f16 v16, v16, 0x2b26, v12
	v_fmamk_f16 v17, v17, 0x2b26, v13
	v_fma_f16 v21, v23, 0x39e0, -v21
	v_fma_f16 v22, v24, 0x39e0, -v22
	;; [unrolled: 1-line block ×4, first 2 shown]
	v_fmamk_f16 v23, v7, 0x3574, v25
	v_fmamk_f16 v24, v8, 0x3574, v26
	v_fma_f16 v6, v6, 0x3b00, -v25
	v_fma_f16 v25, v7, 0xb574, -v27
	;; [unrolled: 1-line block ×3, first 2 shown]
	v_fmamk_f16 v8, v19, 0xbcab, v14
	v_fma_f16 v9, v9, 0x3b00, -v26
	v_fmamk_f16 v19, v20, 0xbcab, v28
	v_fmac_f16_e32 v23, 0x370e, v10
	v_fmac_f16_e32 v24, 0x370e, v15
	v_fmac_f16_e32 v6, 0x370e, v10
	v_fmac_f16_e32 v25, 0x370e, v10
	v_add_f16_e32 v10, v16, v8
	v_fmac_f16_e32 v7, 0x370e, v15
	v_add_f16_e32 v12, v12, v8
	v_fmac_f16_e32 v9, 0x370e, v15
	v_add_f16_e32 v8, v21, v8
	v_add_f16_e32 v15, v17, v19
	;; [unrolled: 1-line block ×4, first 2 shown]
	ds_write_b16 v18, v14
	v_add_f16_e32 v14, v7, v12
	v_add_f16_e32 v16, v22, v19
	v_sub_f16_e32 v19, v8, v9
	v_add_f16_e32 v8, v9, v8
	v_sub_f16_e32 v7, v12, v7
	v_sub_f16_e32 v9, v10, v24
	ds_write_b16 v18, v13 offset:70
	ds_write_b16 v18, v14 offset:140
	;; [unrolled: 1-line block ×6, first 2 shown]
	s_waitcnt lgkmcnt(0)
	s_barrier
	buffer_gl0_inv
	ds_read_u16 v7, v0
	ds_read_u16 v12, v0 offset:490
	ds_read_u16 v8, v0 offset:980
	;; [unrolled: 1-line block ×6, first 2 shown]
	v_sub_f16_e32 v19, v15, v23
	v_sub_f16_e32 v20, v17, v25
	v_add_f16_e32 v21, v6, v16
	v_sub_f16_e32 v6, v16, v6
	v_add_f16_e32 v16, v25, v17
	v_add_f16_e32 v15, v23, v15
	s_waitcnt lgkmcnt(0)
	s_barrier
	buffer_gl0_inv
	ds_write_b16 v18, v28
	ds_write_b16 v18, v19 offset:70
	ds_write_b16 v18, v20 offset:140
	;; [unrolled: 1-line block ×6, first 2 shown]
	s_waitcnt lgkmcnt(0)
	s_barrier
	buffer_gl0_inv
	s_and_saveexec_b32 s0, vcc_lo
	s_cbranch_execz .LBB0_21
; %bb.20:
	v_mul_u32_u24_e32 v6, 6, v11
	v_mul_lo_u32 v11, s2, v4
	v_lshlrev_b64 v[1:2], 2, v[1:2]
	v_lshlrev_b32_e32 v6, 2, v6
	s_clause 0x1
	global_load_dwordx4 v[15:18], v6, s[12:13] offset:960
	global_load_dwordx2 v[19:20], v6, s[12:13] offset:976
	v_mul_lo_u32 v6, s3, v3
	v_mad_u64_u32 v[3:4], null, s2, v3, 0
	v_add3_u32 v4, v4, v11, v6
	ds_read_u16 v11, v0 offset:490
	ds_read_u16 v21, v0 offset:2940
	;; [unrolled: 1-line block ×6, first 2 shown]
	ds_read_u16 v0, v0
	v_mov_b32_e32 v6, 0
	v_lshlrev_b64 v[3:4], 2, v[3:4]
	v_add_co_u32 v26, vcc_lo, s10, v3
	v_add_co_ci_u32_e32 v27, vcc_lo, s11, v4, vcc_lo
	v_lshlrev_b64 v[3:4], 2, v[5:6]
	v_add_co_u32 v1, vcc_lo, v26, v1
	v_add_co_ci_u32_e32 v2, vcc_lo, v27, v2, vcc_lo
	v_add_co_u32 v1, vcc_lo, v1, v3
	v_add_co_ci_u32_e32 v2, vcc_lo, v2, v4, vcc_lo
	;; [unrolled: 2-line block ×4, first 2 shown]
	s_waitcnt vmcnt(1) lgkmcnt(6)
	v_mul_f16_sdwa v26, v11, v15 dst_sel:DWORD dst_unused:UNUSED_PAD src0_sel:DWORD src1_sel:WORD_1
	s_waitcnt vmcnt(0) lgkmcnt(5)
	v_mul_f16_sdwa v27, v21, v20 dst_sel:DWORD dst_unused:UNUSED_PAD src0_sel:DWORD src1_sel:WORD_1
	s_waitcnt lgkmcnt(1)
	v_mul_f16_sdwa v30, v25, v16 dst_sel:DWORD dst_unused:UNUSED_PAD src0_sel:DWORD src1_sel:WORD_1
	v_mul_f16_sdwa v31, v22, v19 dst_sel:DWORD dst_unused:UNUSED_PAD src0_sel:DWORD src1_sel:WORD_1
	;; [unrolled: 1-line block ×10, first 2 shown]
	v_fma_f16 v12, v12, v15, -v26
	v_fma_f16 v14, v14, v20, -v27
	;; [unrolled: 1-line block ×4, first 2 shown]
	v_fmac_f16_e32 v32, v20, v21
	v_fmac_f16_e32 v33, v15, v11
	;; [unrolled: 1-line block ×4, first 2 shown]
	v_fma_f16 v13, v13, v18, -v28
	v_fma_f16 v9, v9, v17, -v29
	v_fmac_f16_e32 v34, v17, v24
	v_fmac_f16_e32 v35, v18, v23
	v_sub_f16_e32 v11, v12, v14
	v_sub_f16_e32 v16, v8, v10
	v_add_f16_e32 v17, v33, v32
	v_add_f16_e32 v19, v37, v36
	;; [unrolled: 1-line block ×4, first 2 shown]
	v_sub_f16_e32 v15, v13, v9
	v_add_f16_e32 v18, v35, v34
	v_add_f16_e32 v9, v13, v9
	v_sub_f16_e32 v10, v33, v32
	v_sub_f16_e32 v13, v35, v34
	;; [unrolled: 1-line block ×3, first 2 shown]
	v_add_f16_e32 v24, v17, v19
	v_add_f16_e32 v27, v12, v8
	v_sub_f16_e32 v20, v11, v15
	v_sub_f16_e32 v21, v15, v16
	v_add_f16_e32 v15, v15, v16
	v_sub_f16_e32 v22, v17, v18
	v_sub_f16_e32 v23, v18, v19
	;; [unrolled: 1-line block ×6, first 2 shown]
	v_add_f16_e32 v13, v13, v14
	v_sub_f16_e32 v16, v16, v11
	v_sub_f16_e32 v8, v8, v12
	;; [unrolled: 1-line block ×3, first 2 shown]
	v_add_f16_e32 v18, v18, v24
	v_add_f16_e32 v9, v9, v27
	v_sub_f16_e32 v17, v19, v17
	v_mul_f16_e32 v14, 0xb846, v21
	v_mul_f16_e32 v19, 0x2b26, v23
	;; [unrolled: 1-line block ×5, first 2 shown]
	v_add_f16_e32 v10, v10, v13
	v_mul_f16_e32 v13, 0x3b00, v16
	v_mul_f16_e32 v26, 0x3b00, v12
	s_waitcnt lgkmcnt(0)
	v_add_f16_e32 v0, v0, v18
	v_add_f16_e32 v7, v7, v9
	;; [unrolled: 1-line block ×3, first 2 shown]
	v_mul_f16_e32 v15, 0x3a52, v22
	v_fmamk_f16 v27, v20, 0x3574, v14
	v_fmamk_f16 v22, v22, 0x3a52, v19
	;; [unrolled: 1-line block ×4, first 2 shown]
	v_fma_f16 v13, v20, 0xb574, -v13
	v_fma_f16 v20, v8, 0xb9e0, -v21
	;; [unrolled: 1-line block ×5, first 2 shown]
	v_fmamk_f16 v16, v18, 0xbcab, v0
	v_fmamk_f16 v9, v9, 0xbcab, v7
	v_fma_f16 v15, v17, 0xb9e0, -v15
	v_fma_f16 v17, v17, 0x39e0, -v19
	;; [unrolled: 1-line block ×3, first 2 shown]
	v_fmac_f16_e32 v27, 0x370e, v11
	v_fmac_f16_e32 v29, 0x370e, v10
	;; [unrolled: 1-line block ×4, first 2 shown]
	v_pack_b32_f16 v0, v7, v0
	v_add_f16_e32 v7, v22, v16
	v_add_f16_e32 v10, v25, v9
	v_fmac_f16_e32 v13, 0x370e, v11
	v_fmac_f16_e32 v14, 0x370e, v11
	v_add_f16_e32 v11, v15, v16
	v_add_f16_e32 v15, v20, v9
	;; [unrolled: 1-line block ×4, first 2 shown]
	global_store_dword v[1:2], v0, off
	v_add_f16_e32 v0, v27, v7
	v_sub_f16_e32 v9, v10, v29
	v_sub_f16_e32 v7, v7, v27
	v_add_f16_e32 v10, v29, v10
	v_add_f16_e32 v17, v13, v11
	v_sub_f16_e32 v11, v11, v13
	v_add_f16_e32 v13, v21, v15
	v_sub_f16_e32 v18, v16, v14
	;; [unrolled: 2-line block ×4, first 2 shown]
	v_pack_b32_f16 v7, v10, v7
	v_pack_b32_f16 v10, v13, v11
	;; [unrolled: 1-line block ×6, first 2 shown]
	global_store_dword v[1:2], v7, off offset:980
	global_store_dword v[1:2], v10, off offset:1960
	;; [unrolled: 1-line block ×6, first 2 shown]
.LBB0_21:
	s_endpgm
	.section	.rodata,"a",@progbits
	.p2align	6, 0x0
	.amdhsa_kernel fft_rtc_fwd_len1715_factors_5_7_7_7_wgs_245_tpt_245_halfLds_half_op_CI_CI_unitstride_sbrr_dirReg
		.amdhsa_group_segment_fixed_size 0
		.amdhsa_private_segment_fixed_size 0
		.amdhsa_kernarg_size 104
		.amdhsa_user_sgpr_count 6
		.amdhsa_user_sgpr_private_segment_buffer 1
		.amdhsa_user_sgpr_dispatch_ptr 0
		.amdhsa_user_sgpr_queue_ptr 0
		.amdhsa_user_sgpr_kernarg_segment_ptr 1
		.amdhsa_user_sgpr_dispatch_id 0
		.amdhsa_user_sgpr_flat_scratch_init 0
		.amdhsa_user_sgpr_private_segment_size 0
		.amdhsa_wavefront_size32 1
		.amdhsa_uses_dynamic_stack 0
		.amdhsa_system_sgpr_private_segment_wavefront_offset 0
		.amdhsa_system_sgpr_workgroup_id_x 1
		.amdhsa_system_sgpr_workgroup_id_y 0
		.amdhsa_system_sgpr_workgroup_id_z 0
		.amdhsa_system_sgpr_workgroup_info 0
		.amdhsa_system_vgpr_workitem_id 0
		.amdhsa_next_free_vgpr 44
		.amdhsa_next_free_sgpr 27
		.amdhsa_reserve_vcc 1
		.amdhsa_reserve_flat_scratch 0
		.amdhsa_float_round_mode_32 0
		.amdhsa_float_round_mode_16_64 0
		.amdhsa_float_denorm_mode_32 3
		.amdhsa_float_denorm_mode_16_64 3
		.amdhsa_dx10_clamp 1
		.amdhsa_ieee_mode 1
		.amdhsa_fp16_overflow 0
		.amdhsa_workgroup_processor_mode 1
		.amdhsa_memory_ordered 1
		.amdhsa_forward_progress 0
		.amdhsa_shared_vgpr_count 0
		.amdhsa_exception_fp_ieee_invalid_op 0
		.amdhsa_exception_fp_denorm_src 0
		.amdhsa_exception_fp_ieee_div_zero 0
		.amdhsa_exception_fp_ieee_overflow 0
		.amdhsa_exception_fp_ieee_underflow 0
		.amdhsa_exception_fp_ieee_inexact 0
		.amdhsa_exception_int_div_zero 0
	.end_amdhsa_kernel
	.text
.Lfunc_end0:
	.size	fft_rtc_fwd_len1715_factors_5_7_7_7_wgs_245_tpt_245_halfLds_half_op_CI_CI_unitstride_sbrr_dirReg, .Lfunc_end0-fft_rtc_fwd_len1715_factors_5_7_7_7_wgs_245_tpt_245_halfLds_half_op_CI_CI_unitstride_sbrr_dirReg
                                        ; -- End function
	.section	.AMDGPU.csdata,"",@progbits
; Kernel info:
; codeLenInByte = 5588
; NumSgprs: 29
; NumVgprs: 44
; ScratchSize: 0
; MemoryBound: 0
; FloatMode: 240
; IeeeMode: 1
; LDSByteSize: 0 bytes/workgroup (compile time only)
; SGPRBlocks: 3
; VGPRBlocks: 5
; NumSGPRsForWavesPerEU: 29
; NumVGPRsForWavesPerEU: 44
; Occupancy: 16
; WaveLimiterHint : 1
; COMPUTE_PGM_RSRC2:SCRATCH_EN: 0
; COMPUTE_PGM_RSRC2:USER_SGPR: 6
; COMPUTE_PGM_RSRC2:TRAP_HANDLER: 0
; COMPUTE_PGM_RSRC2:TGID_X_EN: 1
; COMPUTE_PGM_RSRC2:TGID_Y_EN: 0
; COMPUTE_PGM_RSRC2:TGID_Z_EN: 0
; COMPUTE_PGM_RSRC2:TIDIG_COMP_CNT: 0
	.text
	.p2alignl 6, 3214868480
	.fill 48, 4, 3214868480
	.type	__hip_cuid_cb7eead36a244c3c,@object ; @__hip_cuid_cb7eead36a244c3c
	.section	.bss,"aw",@nobits
	.globl	__hip_cuid_cb7eead36a244c3c
__hip_cuid_cb7eead36a244c3c:
	.byte	0                               ; 0x0
	.size	__hip_cuid_cb7eead36a244c3c, 1

	.ident	"AMD clang version 19.0.0git (https://github.com/RadeonOpenCompute/llvm-project roc-6.4.0 25133 c7fe45cf4b819c5991fe208aaa96edf142730f1d)"
	.section	".note.GNU-stack","",@progbits
	.addrsig
	.addrsig_sym __hip_cuid_cb7eead36a244c3c
	.amdgpu_metadata
---
amdhsa.kernels:
  - .args:
      - .actual_access:  read_only
        .address_space:  global
        .offset:         0
        .size:           8
        .value_kind:     global_buffer
      - .offset:         8
        .size:           8
        .value_kind:     by_value
      - .actual_access:  read_only
        .address_space:  global
        .offset:         16
        .size:           8
        .value_kind:     global_buffer
      - .actual_access:  read_only
        .address_space:  global
        .offset:         24
        .size:           8
        .value_kind:     global_buffer
      - .actual_access:  read_only
        .address_space:  global
        .offset:         32
        .size:           8
        .value_kind:     global_buffer
      - .offset:         40
        .size:           8
        .value_kind:     by_value
      - .actual_access:  read_only
        .address_space:  global
        .offset:         48
        .size:           8
        .value_kind:     global_buffer
      - .actual_access:  read_only
        .address_space:  global
        .offset:         56
        .size:           8
        .value_kind:     global_buffer
      - .offset:         64
        .size:           4
        .value_kind:     by_value
      - .actual_access:  read_only
        .address_space:  global
        .offset:         72
        .size:           8
        .value_kind:     global_buffer
      - .actual_access:  read_only
        .address_space:  global
        .offset:         80
        .size:           8
        .value_kind:     global_buffer
      - .actual_access:  read_only
        .address_space:  global
        .offset:         88
        .size:           8
        .value_kind:     global_buffer
      - .actual_access:  write_only
        .address_space:  global
        .offset:         96
        .size:           8
        .value_kind:     global_buffer
    .group_segment_fixed_size: 0
    .kernarg_segment_align: 8
    .kernarg_segment_size: 104
    .language:       OpenCL C
    .language_version:
      - 2
      - 0
    .max_flat_workgroup_size: 245
    .name:           fft_rtc_fwd_len1715_factors_5_7_7_7_wgs_245_tpt_245_halfLds_half_op_CI_CI_unitstride_sbrr_dirReg
    .private_segment_fixed_size: 0
    .sgpr_count:     29
    .sgpr_spill_count: 0
    .symbol:         fft_rtc_fwd_len1715_factors_5_7_7_7_wgs_245_tpt_245_halfLds_half_op_CI_CI_unitstride_sbrr_dirReg.kd
    .uniform_work_group_size: 1
    .uses_dynamic_stack: false
    .vgpr_count:     44
    .vgpr_spill_count: 0
    .wavefront_size: 32
    .workgroup_processor_mode: 1
amdhsa.target:   amdgcn-amd-amdhsa--gfx1030
amdhsa.version:
  - 1
  - 2
...

	.end_amdgpu_metadata
